;; amdgpu-corpus repo=ROCm/rocFFT kind=compiled arch=gfx906 opt=O3
	.text
	.amdgcn_target "amdgcn-amd-amdhsa--gfx906"
	.amdhsa_code_object_version 6
	.protected	bluestein_single_fwd_len55_dim1_half_op_CI_CI ; -- Begin function bluestein_single_fwd_len55_dim1_half_op_CI_CI
	.globl	bluestein_single_fwd_len55_dim1_half_op_CI_CI
	.p2align	8
	.type	bluestein_single_fwd_len55_dim1_half_op_CI_CI,@function
bluestein_single_fwd_len55_dim1_half_op_CI_CI: ; @bluestein_single_fwd_len55_dim1_half_op_CI_CI
; %bb.0:
	v_mul_u32_u24_e32 v1, 0x1746, v0
	s_load_dwordx4 s[12:15], s[4:5], 0x28
	v_lshrrev_b32_e32 v1, 16, v1
	v_mad_u64_u32 v[8:9], s[0:1], s6, 23, v[1:2]
	v_mov_b32_e32 v9, 0
	s_waitcnt lgkmcnt(0)
	v_cmp_gt_u64_e32 vcc, s[12:13], v[8:9]
	s_and_saveexec_b64 s[0:1], vcc
	s_cbranch_execz .LBB0_10
; %bb.1:
	s_load_dwordx4 s[8:11], s[4:5], 0x18
	s_load_dwordx4 s[0:3], s[4:5], 0x0
	v_mul_lo_u16_e32 v1, 11, v1
	v_sub_u16_e32 v28, v0, v1
	v_lshlrev_b32_e32 v31, 2, v28
	s_waitcnt lgkmcnt(0)
	s_load_dwordx4 s[16:19], s[8:9], 0x0
	s_movk_i32 s12, 0x34f2
	s_mov_b32 s13, 0xffff
	s_load_dwordx2 s[4:5], s[4:5], 0x38
                                        ; implicit-def: $vgpr36
                                        ; implicit-def: $vgpr37
                                        ; implicit-def: $vgpr42
                                        ; implicit-def: $vgpr43
                                        ; implicit-def: $vgpr38
                                        ; implicit-def: $vgpr44
                                        ; implicit-def: $vgpr39
                                        ; implicit-def: $vgpr19
                                        ; implicit-def: $vgpr21
	s_waitcnt lgkmcnt(0)
	v_mad_u64_u32 v[0:1], s[6:7], s18, v8, 0
	v_mad_u64_u32 v[2:3], s[6:7], s16, v28, 0
	;; [unrolled: 1-line block ×4, first 2 shown]
	v_mov_b32_e32 v1, v4
	v_lshlrev_b64 v[0:1], 2, v[0:1]
	v_mov_b32_e32 v6, s15
	v_mov_b32_e32 v3, v5
	v_add_co_u32_e32 v4, vcc, s14, v0
	v_addc_co_u32_e32 v5, vcc, v6, v1, vcc
	v_lshlrev_b64 v[0:1], 2, v[2:3]
	s_mul_i32 s6, s17, 44
	v_add_co_u32_e32 v0, vcc, v4, v0
	s_mul_hi_u32 s7, s16, 44
	v_addc_co_u32_e32 v1, vcc, v5, v1, vcc
	s_add_i32 s6, s7, s6
	s_mul_i32 s7, s16, 44
	global_load_dword v2, v[0:1], off
	v_mov_b32_e32 v3, s6
	v_add_co_u32_e32 v0, vcc, s7, v0
	v_addc_co_u32_e32 v1, vcc, v1, v3, vcc
	global_load_dword v3, v[0:1], off
	global_load_dword v29, v31, s[0:1]
	global_load_dword v27, v31, s[0:1] offset:44
	v_mov_b32_e32 v4, s6
	v_add_co_u32_e32 v0, vcc, s7, v0
	v_addc_co_u32_e32 v1, vcc, v1, v4, vcc
	global_load_dword v4, v[0:1], off
	global_load_dword v26, v31, s[0:1] offset:88
	v_mov_b32_e32 v5, s6
	v_add_co_u32_e32 v0, vcc, s7, v0
	v_addc_co_u32_e32 v1, vcc, v1, v5, vcc
	global_load_dword v5, v[0:1], off
	;; [unrolled: 5-line block ×3, first 2 shown]
	global_load_dword v23, v31, s[0:1] offset:176
	s_mov_b32 s6, 0xb21642c9
	v_mul_hi_u32 v0, v8, s6
	s_load_dwordx4 s[8:11], s[10:11], 0x0
	s_movk_i32 s6, 0x3b9c
	s_movk_i32 s7, 0x38b4
	v_lshrrev_b32_e32 v0, 4, v0
	v_mul_lo_u32 v0, v0, 23
	v_sub_u32_e32 v0, v8, v0
	v_mul_u32_u24_e32 v0, 55, v0
	v_lshlrev_b32_e32 v30, 2, v0
	v_add_u32_e32 v24, v31, v30
	s_waitcnt vmcnt(9)
	v_lshrrev_b32_e32 v0, 16, v2
	s_waitcnt vmcnt(7)
	v_mul_f16_sdwa v1, v29, v2 dst_sel:DWORD dst_unused:UNUSED_PAD src0_sel:WORD_1 src1_sel:DWORD
	v_mul_f16_sdwa v7, v29, v0 dst_sel:DWORD dst_unused:UNUSED_PAD src0_sel:WORD_1 src1_sel:DWORD
	v_fma_f16 v0, v29, v0, -v1
	v_lshrrev_b32_e32 v1, 16, v3
	s_waitcnt vmcnt(6)
	v_mul_f16_sdwa v9, v27, v3 dst_sel:DWORD dst_unused:UNUSED_PAD src0_sel:WORD_1 src1_sel:DWORD
	v_fma_f16 v2, v29, v2, v7
	v_mul_f16_sdwa v7, v27, v1 dst_sel:DWORD dst_unused:UNUSED_PAD src0_sel:WORD_1 src1_sel:DWORD
	v_fma_f16 v1, v27, v1, -v9
	s_waitcnt vmcnt(5)
	v_lshrrev_b32_e32 v9, 16, v4
	s_waitcnt vmcnt(4)
	v_mul_f16_sdwa v10, v26, v4 dst_sel:DWORD dst_unused:UNUSED_PAD src0_sel:WORD_1 src1_sel:DWORD
	v_pack_b32_f16 v0, v2, v0
	v_fma_f16 v2, v27, v3, v7
	v_mul_f16_sdwa v3, v26, v9 dst_sel:DWORD dst_unused:UNUSED_PAD src0_sel:WORD_1 src1_sel:DWORD
	v_fma_f16 v7, v26, v9, -v10
	s_waitcnt vmcnt(3)
	v_lshrrev_b32_e32 v9, 16, v5
	s_waitcnt vmcnt(2)
	v_mul_f16_sdwa v10, v25, v5 dst_sel:DWORD dst_unused:UNUSED_PAD src0_sel:WORD_1 src1_sel:DWORD
	v_pack_b32_f16 v1, v2, v1
	v_fma_f16 v2, v26, v4, v3
	v_mul_f16_sdwa v3, v25, v9 dst_sel:DWORD dst_unused:UNUSED_PAD src0_sel:WORD_1 src1_sel:DWORD
	v_fma_f16 v4, v25, v9, -v10
	s_waitcnt vmcnt(1)
	v_lshrrev_b32_e32 v9, 16, v6
	s_waitcnt vmcnt(0)
	v_mul_f16_sdwa v10, v23, v6 dst_sel:DWORD dst_unused:UNUSED_PAD src0_sel:WORD_1 src1_sel:DWORD
	ds_write2_b32 v24, v0, v1 offset1:11
	v_pack_b32_f16 v0, v2, v7
	v_fma_f16 v1, v25, v5, v3
	v_mul_f16_sdwa v2, v23, v9 dst_sel:DWORD dst_unused:UNUSED_PAD src0_sel:WORD_1 src1_sel:DWORD
	v_fma_f16 v3, v23, v9, -v10
	v_pack_b32_f16 v1, v1, v4
	v_fma_f16 v2, v23, v6, v2
	ds_write2_b32 v24, v0, v1 offset0:22 offset1:33
	v_pack_b32_f16 v0, v2, v3
	ds_write_b32 v24, v0 offset:176
	s_waitcnt lgkmcnt(0)
	s_barrier
	ds_read2_b32 v[0:1], v24 offset1:11
	ds_read2_b32 v[2:3], v24 offset0:22 offset1:33
	ds_read_b32 v4, v24 offset:176
	s_waitcnt lgkmcnt(0)
	s_barrier
	v_pk_add_f16 v5, v2, v3 neg_lo:[0,1] neg_hi:[0,1]
	v_pk_add_f16 v6, v1, v4
	v_pk_add_f16 v7, v2, v1 neg_lo:[0,1] neg_hi:[0,1]
	v_pk_add_f16 v9, v3, v4 neg_lo:[0,1] neg_hi:[0,1]
	v_pk_fma_f16 v6, v6, 0.5, v0 op_sel_hi:[1,0,1] neg_lo:[1,0,0] neg_hi:[1,0,0]
	v_pk_add_f16 v7, v7, v9
	v_pk_mul_f16 v9, v5, s6 op_sel_hi:[1,0]
	v_pk_add_f16 v10, v6, v9 op_sel:[0,1] op_sel_hi:[1,0] neg_lo:[0,1] neg_hi:[0,1]
	v_pk_add_f16 v6, v9, v6 op_sel:[1,0] op_sel_hi:[0,1]
	v_pk_add_f16 v9, v1, v4 neg_lo:[0,1] neg_hi:[0,1]
	v_pk_mul_f16 v11, v9, s7 op_sel_hi:[1,0]
	v_pk_add_f16 v10, v11, v10 op_sel:[1,0] op_sel_hi:[0,1]
	v_pk_add_f16 v6, v6, v11 op_sel:[0,1] op_sel_hi:[1,0] neg_lo:[0,1] neg_hi:[0,1]
	v_pk_fma_f16 v15, v7, s12, v10 op_sel_hi:[1,0,1]
	v_pk_fma_f16 v16, v7, s12, v6 op_sel_hi:[1,0,1]
	v_mul_lo_u16_e32 v6, 5, v28
	v_lshl_add_u32 v32, v6, 2, v30
	v_bfi_b32 v6, s13, v16, v15
	v_bfi_b32 v7, s13, v15, v16
	ds_write2_b32 v32, v7, v6 offset0:2 offset1:3
	v_mov_b32_e32 v6, s1
	v_add_co_u32_e32 v11, vcc, s0, v31
	v_addc_co_u32_e32 v12, vcc, 0, v6, vcc
	v_pk_add_f16 v6, v2, v3
	v_pk_fma_f16 v6, v6, 0.5, v0 op_sel_hi:[1,0,1] neg_lo:[1,0,0] neg_hi:[1,0,0]
	v_pk_add_f16 v0, v0, v1
	v_pk_add_f16 v1, v1, v2 neg_lo:[0,1] neg_hi:[0,1]
	v_pk_add_f16 v0, v0, v2
	v_pk_add_f16 v2, v4, v3 neg_lo:[0,1] neg_hi:[0,1]
	v_pk_add_f16 v1, v1, v2
	v_pk_mul_f16 v2, v9, s6 op_sel_hi:[1,0]
	v_pk_add_f16 v0, v0, v3
	v_pk_add_f16 v3, v6, v2 op_sel:[0,1] op_sel_hi:[1,0]
	v_pk_add_f16 v2, v6, v2 op_sel:[0,1] op_sel_hi:[1,0] neg_lo:[0,1] neg_hi:[0,1]
	v_pk_mul_f16 v5, v5, s7 op_sel_hi:[1,0]
	v_pk_add_f16 v3, v3, v5 op_sel:[0,1] op_sel_hi:[1,0]
	v_pk_add_f16 v2, v2, v5 op_sel:[0,1] op_sel_hi:[1,0] neg_lo:[0,1] neg_hi:[0,1]
	v_pk_add_f16 v13, v0, v4
	v_bfi_b32 v0, s13, v3, v2
	v_pk_fma_f16 v14, v1, s12, v0 op_sel_hi:[1,0,1]
	v_bfi_b32 v0, s13, v2, v3
	v_pk_fma_f16 v17, v1, s12, v0 op_sel_hi:[1,0,1]
	v_cmp_gt_u16_e32 vcc, 5, v28
	v_lshrrev_b32_e32 v33, 16, v15
	v_lshrrev_b32_e32 v34, 16, v16
	;; [unrolled: 1-line block ×3, first 2 shown]
	ds_write2_b32 v32, v13, v14 offset1:1
	ds_write_b32 v32, v17 offset:16
	s_waitcnt lgkmcnt(0)
	s_barrier
	s_and_saveexec_b64 s[6:7], vcc
	s_cbranch_execz .LBB0_3
; %bb.2:
	ds_read2_b32 v[15:16], v24 offset0:10 offset1:15
	ds_read2_b32 v[17:18], v24 offset0:20 offset1:25
	ds_read2_b32 v[13:14], v24 offset1:5
	ds_read2_b32 v[19:20], v24 offset0:30 offset1:35
	ds_read2_b32 v[21:22], v24 offset0:40 offset1:45
	ds_read_b32 v38, v24 offset:200
	s_waitcnt lgkmcnt(5)
	v_lshrrev_b32_e32 v34, 16, v15
	v_lshrrev_b32_e32 v33, 16, v16
	s_waitcnt lgkmcnt(4)
	v_lshrrev_b32_e32 v35, 16, v17
	v_lshrrev_b32_e32 v39, 16, v18
	;; [unrolled: 3-line block ×4, first 2 shown]
	s_waitcnt lgkmcnt(0)
	v_lshrrev_b32_e32 v44, 16, v38
.LBB0_3:
	s_or_b64 exec, exec, s[6:7]
	s_movk_i32 s6, 0xcd
	v_mul_lo_u16_sdwa v0, v28, s6 dst_sel:DWORD dst_unused:UNUSED_PAD src0_sel:BYTE_0 src1_sel:DWORD
	v_lshrrev_b16_e32 v0, 10, v0
	v_mul_lo_u16_e32 v0, 5, v0
	v_sub_u16_e32 v0, v28, v0
	v_mul_lo_u16_e32 v0, 10, v0
	v_and_b32_e32 v0, 0xfe, v0
	v_lshlrev_b32_e32 v40, 2, v0
	global_load_dwordx4 v[0:3], v40, s[2:3]
	global_load_dwordx4 v[4:7], v40, s[2:3] offset:16
	global_load_dwordx2 v[9:10], v40, s[2:3] offset:32
	v_lshrrev_b32_e32 v54, 16, v14
	s_movk_i32 s2, 0x36a6
	s_mov_b32 s3, 0xb93d
	s_mov_b32 s6, 0xb08e
	;; [unrolled: 1-line block ×3, first 2 shown]
	s_movk_i32 s12, 0x3abb
	s_waitcnt vmcnt(2)
	v_mul_f16_sdwa v64, v14, v0 dst_sel:DWORD dst_unused:UNUSED_PAD src0_sel:DWORD src1_sel:WORD_1
	v_mul_f16_sdwa v53, v15, v1 dst_sel:DWORD dst_unused:UNUSED_PAD src0_sel:DWORD src1_sel:WORD_1
	s_waitcnt vmcnt(0)
	v_mul_f16_sdwa v63, v38, v10 dst_sel:DWORD dst_unused:UNUSED_PAD src0_sel:DWORD src1_sel:WORD_1
	v_mul_f16_sdwa v55, v16, v2 dst_sel:DWORD dst_unused:UNUSED_PAD src0_sel:DWORD src1_sel:WORD_1
	;; [unrolled: 1-line block ×8, first 2 shown]
	v_fma_f16 v44, v44, v10, v63
	v_fma_f16 v54, v54, v0, v64
	v_mul_f16_sdwa v40, v34, v1 dst_sel:DWORD dst_unused:UNUSED_PAD src0_sel:DWORD src1_sel:WORD_1
	v_mul_f16_sdwa v57, v18, v4 dst_sel:DWORD dst_unused:UNUSED_PAD src0_sel:DWORD src1_sel:WORD_1
	;; [unrolled: 1-line block ×6, first 2 shown]
	v_fma_f16 v48, v18, v4, -v48
	v_fma_f16 v49, v19, v5, -v49
	;; [unrolled: 1-line block ×3, first 2 shown]
	v_fma_f16 v18, v34, v1, v53
	v_fma_f16 v20, v33, v2, v55
	;; [unrolled: 1-line block ×3, first 2 shown]
	v_fma_f16 v53, v38, v10, -v62
	v_fma_f16 v55, v14, v0, -v65
	v_sub_f16_e32 v19, v54, v44
	v_mul_f16_sdwa v41, v33, v2 dst_sel:DWORD dst_unused:UNUSED_PAD src0_sel:DWORD src1_sel:WORD_1
	v_mul_f16_sdwa v56, v17, v3 dst_sel:DWORD dst_unused:UNUSED_PAD src0_sel:DWORD src1_sel:WORD_1
	;; [unrolled: 1-line block ×3, first 2 shown]
	v_fma_f16 v45, v15, v1, -v40
	v_fma_f16 v52, v22, v9, -v52
	v_fma_f16 v39, v39, v4, v57
	v_fma_f16 v42, v42, v7, v60
	v_add_f16_e32 v70, v55, v53
	v_sub_f16_e32 v22, v18, v43
	v_mul_f16_e32 v57, 0xbb47, v19
	v_mul_f16_sdwa v47, v35, v3 dst_sel:DWORD dst_unused:UNUSED_PAD src0_sel:DWORD src1_sel:WORD_1
	v_fma_f16 v46, v16, v2, -v41
	v_fma_f16 v51, v21, v7, -v51
	v_fma_f16 v21, v35, v3, v56
	v_fma_f16 v41, v37, v6, v59
	v_add_f16_e32 v68, v45, v52
	v_sub_f16_e32 v33, v20, v42
	v_mul_f16_e32 v56, 0xba0c, v22
	v_mul_f16_e32 v64, 0xbbeb, v19
	v_fma_f16 v14, v70, s2, v57
	v_fma_f16 v47, v17, v3, -v47
	v_fma_f16 v40, v36, v5, v58
	v_add_f16_e32 v67, v46, v51
	v_sub_f16_e32 v34, v21, v41
	v_mul_f16_e32 v61, 0x3482, v22
	v_mul_f16_e32 v58, 0x3482, v33
	v_fma_f16 v15, v68, s3, v56
	v_fma_f16 v16, v70, s6, v64
	v_add_f16_e32 v14, v13, v14
	v_add_f16_e32 v66, v47, v50
	v_sub_f16_e32 v35, v39, v40
	v_mul_f16_e32 v62, 0x3b47, v33
	v_mul_f16_e32 v59, 0x3beb, v34
	v_fma_f16 v17, v68, s7, v61
	v_fma_f16 v36, v67, s7, v58
	v_add_f16_e32 v16, v13, v16
	v_add_f16_e32 v14, v15, v14
	;; [unrolled: 1-line block ×3, first 2 shown]
	v_mul_f16_e32 v63, 0xb853, v34
	v_mul_f16_e32 v60, 0x3853, v35
	v_fma_f16 v37, v67, s2, v62
	v_fma_f16 v38, v66, s6, v59
	v_add_f16_e32 v15, v17, v16
	v_add_f16_e32 v14, v36, v14
	v_mul_f16_e32 v65, 0xba0c, v35
	v_mul_f16_e32 v72, 0xba0c, v19
	v_fma_f16 v71, v66, s12, v63
	v_fma_f16 v73, v69, s12, v60
	v_add_f16_e32 v15, v37, v15
	v_add_f16_e32 v14, v38, v14
	v_fma_f16 v74, v69, s3, v65
	v_add_f16_e32 v15, v71, v15
	v_add_f16_e32 v17, v73, v14
	v_fma_f16 v14, v70, s3, v72
	v_mul_f16_e32 v76, 0x3beb, v22
	v_add_f16_e32 v16, v74, v15
	v_add_f16_e32 v14, v13, v14
	v_fma_f16 v15, v68, s6, v76
	v_mul_f16_e32 v36, 0xb482, v19
	v_add_f16_e32 v14, v15, v14
	v_fma_f16 v15, v70, s7, v36
	v_mul_f16_e32 v37, 0x3853, v22
	;; [unrolled: 3-line block ×3, first 2 shown]
	v_add_f16_e32 v15, v38, v15
	v_fma_f16 v38, v67, s12, v77
	v_add_f16_e32 v14, v38, v14
	v_mul_f16_e32 v38, 0xba0c, v33
	v_fma_f16 v71, v67, s3, v38
	v_mul_f16_e32 v78, 0xb482, v34
	v_add_f16_e32 v15, v71, v15
	v_fma_f16 v71, v66, s7, v78
	v_mul_f16_e32 v89, 0x3b47, v34
	v_add_f16_e32 v14, v71, v14
	v_fma_f16 v71, v66, s2, v89
	v_mul_f16_e32 v79, 0x3b47, v35
	v_add_f16_e32 v71, v71, v15
	v_fma_f16 v15, v69, s2, v79
	v_mul_f16_e32 v106, 0xbbeb, v35
	v_add_f16_e32 v15, v15, v14
	v_fma_f16 v14, v69, s6, v106
	v_add_f16_e32 v14, v14, v71
	v_mul_f16_e32 v71, 0xb853, v19
	v_fma_f16 v19, v70, s12, v71
	v_mul_f16_e32 v73, 0xbb47, v22
	v_add_f16_e32 v19, v13, v19
	v_fma_f16 v22, v68, s2, v73
	v_add_f16_e32 v19, v22, v19
	v_sub_f16_e32 v22, v55, v53
	v_add_f16_e32 v96, v54, v44
	v_mul_f16_e32 v74, 0xb853, v22
	v_fma_f16 v75, v96, s12, -v74
	v_sub_f16_e32 v83, v45, v52
	v_add_f16_sdwa v80, v13, v75 dst_sel:DWORD dst_unused:UNUSED_PAD src0_sel:WORD_1 src1_sel:DWORD
	v_add_f16_e32 v95, v18, v43
	v_mul_f16_e32 v75, 0xbb47, v83
	v_fma_f16 v81, v95, s2, -v75
	v_add_f16_e32 v84, v81, v80
	v_mul_f16_e32 v81, 0xbb47, v22
	v_fma_f16 v80, v96, s2, -v81
	v_mul_f16_e32 v82, 0xba0c, v83
	v_add_f16_sdwa v80, v13, v80 dst_sel:DWORD dst_unused:UNUSED_PAD src0_sel:WORD_1 src1_sel:DWORD
	v_fma_f16 v85, v95, s3, -v82
	v_add_f16_e32 v87, v85, v80
	v_mul_f16_e32 v85, 0xbbeb, v22
	v_fma_f16 v80, v96, s6, -v85
	v_mul_f16_e32 v86, 0x3482, v83
	v_add_f16_sdwa v80, v13, v80 dst_sel:DWORD dst_unused:UNUSED_PAD src0_sel:WORD_1 src1_sel:DWORD
	v_fma_f16 v88, v95, s7, -v86
	v_mul_f16_e32 v91, 0xba0c, v22
	v_add_f16_e32 v92, v88, v80
	v_fma_f16 v80, v96, s3, -v91
	v_mul_f16_e32 v90, 0x3beb, v83
	v_fma_f16 v36, v70, s7, -v36
	v_add_f16_sdwa v80, v13, v80 dst_sel:DWORD dst_unused:UNUSED_PAD src0_sel:WORD_1 src1_sel:DWORD
	v_fma_f16 v88, v95, s6, -v90
	v_add_f16_e32 v36, v13, v36
	v_fma_f16 v37, v68, s12, -v37
	v_mul_f16_e32 v22, 0xb482, v22
	v_add_f16_e32 v93, v88, v80
	v_add_f16_e32 v36, v37, v36
	v_fma_f16 v37, v96, s7, v22
	v_mul_f16_e32 v80, 0x3853, v83
	v_fma_f16 v22, v96, s7, -v22
	v_fma_f16 v83, v95, s12, v80
	v_add_f16_sdwa v22, v13, v22 dst_sel:DWORD dst_unused:UNUSED_PAD src0_sel:WORD_1 src1_sel:DWORD
	v_fma_f16 v80, v95, s12, -v80
	v_add_f16_e32 v22, v80, v22
	v_mul_f16_e32 v80, 0xbbeb, v33
	v_fma_f16 v33, v67, s6, v80
	v_add_f16_sdwa v37, v13, v37 dst_sel:DWORD dst_unused:UNUSED_PAD src0_sel:WORD_1 src1_sel:DWORD
	v_add_f16_e32 v19, v33, v19
	v_sub_f16_e32 v33, v46, v51
	v_add_f16_e32 v37, v83, v37
	v_add_f16_e32 v100, v20, v42
	v_mul_f16_e32 v83, 0xbbeb, v33
	v_fma_f16 v88, v100, s6, -v83
	v_add_f16_e32 v97, v88, v84
	v_mul_f16_e32 v88, 0x3482, v33
	v_fma_f16 v84, v100, s7, -v88
	v_mul_f16_e32 v94, 0x3b47, v33
	v_add_f16_e32 v98, v84, v87
	v_fma_f16 v84, v100, s2, -v94
	v_mul_f16_e32 v99, 0xb853, v33
	v_add_f16_e32 v92, v84, v92
	v_fma_f16 v84, v100, s12, -v99
	v_fma_f16 v38, v67, s3, -v38
	v_mul_f16_e32 v33, 0xba0c, v33
	v_add_f16_e32 v101, v84, v93
	v_add_f16_e32 v36, v38, v36
	v_fma_f16 v38, v100, s3, v33
	v_fma_f16 v33, v100, s3, -v33
	v_mul_f16_e32 v84, 0xba0c, v34
	v_add_f16_e32 v22, v33, v22
	v_fma_f16 v33, v66, s3, v84
	v_add_f16_e32 v19, v33, v19
	v_sub_f16_e32 v33, v47, v50
	v_add_f16_e32 v103, v21, v41
	v_mul_f16_e32 v93, 0x3beb, v33
	v_add_f16_e32 v37, v38, v37
	v_fma_f16 v38, v103, s6, -v93
	v_add_f16_e32 v105, v38, v98
	v_mul_f16_e32 v98, 0xb853, v33
	v_fma_f16 v38, v103, s12, -v98
	v_mul_f16_e32 v102, 0xb482, v33
	v_add_f16_e32 v107, v38, v92
	v_fma_f16 v38, v103, s7, -v102
	v_mul_f16_e32 v87, 0xba0c, v33
	v_add_f16_e32 v108, v38, v101
	;; [unrolled: 3-line block ×3, first 2 shown]
	v_fma_f16 v36, v103, s2, v33
	v_fma_f16 v33, v103, s2, -v33
	v_mul_f16_e32 v89, 0xb482, v35
	v_add_f16_e32 v33, v33, v22
	v_fma_f16 v22, v69, s7, v89
	v_add_f16_e32 v110, v36, v37
	v_add_f16_e32 v37, v22, v19
	v_sub_f16_e32 v19, v48, v49
	v_fma_f16 v34, v103, s3, -v87
	v_add_f16_e32 v104, v39, v40
	v_mul_f16_e32 v92, 0xb482, v19
	v_add_f16_e32 v34, v34, v97
	v_fma_f16 v22, v104, s7, -v92
	v_mul_f16_e32 v97, 0x3853, v19
	v_add_f16_e32 v38, v22, v34
	v_fma_f16 v22, v104, s12, -v97
	;; [unrolled: 3-line block ×4, first 2 shown]
	v_mul_f16_e32 v19, 0xbbeb, v19
	v_add_f16_e32 v34, v22, v108
	v_fma_f16 v22, v104, s6, v19
	v_fma_f16 v19, v104, s6, -v19
	v_add_f16_e32 v33, v19, v33
	v_fma_f16 v19, v69, s6, -v106
	v_add_f16_e32 v22, v22, v110
	v_add_f16_e32 v19, v19, v109
	s_and_saveexec_b64 s[2:3], vcc
	s_cbranch_execz .LBB0_5
; %bb.4:
	v_mul_f16_e32 v108, 0x36a6, v70
	v_mul_f16_e32 v114, 0xb93d, v68
	v_sub_f16_e32 v57, v108, v57
	v_mul_f16_e32 v120, 0xbbad, v67
	v_add_f16_e32 v57, v13, v57
	v_sub_f16_e32 v56, v114, v56
	v_mul_f16_e32 v126, 0xb08e, v66
	v_add_f16_e32 v56, v56, v57
	;; [unrolled: 3-line block ×3, first 2 shown]
	v_sub_f16_e32 v57, v126, v59
	v_mul_f16_e32 v106, 0x3abb, v70
	v_mul_f16_e32 v107, 0x3abb, v96
	;; [unrolled: 1-line block ×4, first 2 shown]
	v_add_f16_e32 v56, v57, v56
	v_sub_f16_e32 v57, v132, v60
	v_mul_f16_e32 v112, 0x36a6, v68
	v_mul_f16_e32 v113, 0x36a6, v95
	;; [unrolled: 1-line block ×4, first 2 shown]
	v_sub_f16_e32 v70, v70, v72
	v_sub_f16_e32 v64, v110, v64
	v_add_f16_e32 v56, v57, v56
	v_add_f16_e32 v57, v74, v107
	v_mul_f16_e32 v118, 0xb08e, v67
	v_mul_f16_e32 v119, 0xb08e, v100
	;; [unrolled: 1-line block ×4, first 2 shown]
	v_add_f16_e32 v70, v13, v70
	v_sub_f16_e32 v68, v68, v76
	v_add_f16_e32 v64, v13, v64
	v_sub_f16_e32 v61, v116, v61
	v_add_f16_sdwa v57, v13, v57 dst_sel:DWORD dst_unused:UNUSED_PAD src0_sel:WORD_1 src1_sel:DWORD
	v_add_f16_e32 v58, v75, v113
	v_mul_f16_e32 v124, 0xb93d, v66
	v_mul_f16_e32 v125, 0xb93d, v103
	;; [unrolled: 1-line block ×4, first 2 shown]
	v_add_f16_e32 v68, v68, v70
	v_sub_f16_e32 v67, v67, v77
	v_add_f16_e32 v61, v61, v64
	v_sub_f16_e32 v62, v122, v62
	v_add_f16_e32 v57, v58, v57
	v_add_f16_e32 v58, v83, v119
	v_mul_f16_e32 v130, 0xbbad, v69
	v_mul_f16_e32 v131, 0xbbad, v104
	;; [unrolled: 1-line block ×4, first 2 shown]
	v_add_f16_e32 v67, v67, v68
	v_sub_f16_e32 v66, v66, v78
	v_add_f16_e32 v61, v62, v61
	v_sub_f16_e32 v62, v128, v63
	v_add_f16_e32 v57, v58, v57
	v_add_f16_e32 v58, v87, v125
	v_mul_f16_e32 v109, 0x36a6, v96
	v_mul_f16_e32 v111, 0xb08e, v96
	;; [unrolled: 1-line block ×3, first 2 shown]
	v_add_f16_e32 v66, v66, v67
	v_sub_f16_e32 v67, v69, v79
	v_add_f16_e32 v61, v62, v61
	v_sub_f16_e32 v62, v134, v65
	v_add_f16_e32 v57, v58, v57
	v_add_f16_e32 v58, v92, v131
	;; [unrolled: 1-line block ×8, first 2 shown]
	v_sub_f16_e32 v58, v106, v71
	v_add_f16_sdwa v91, v13, v91 dst_sel:DWORD dst_unused:UNUSED_PAD src0_sel:WORD_1 src1_sel:DWORD
	v_add_f16_sdwa v67, v13, v67 dst_sel:DWORD dst_unused:UNUSED_PAD src0_sel:WORD_1 src1_sel:DWORD
	;; [unrolled: 1-line block ×3, first 2 shown]
	v_add_f16_e32 v58, v13, v58
	v_add_f16_e32 v55, v13, v55
	v_add_f16_sdwa v13, v13, v54 dst_sel:DWORD dst_unused:UNUSED_PAD src0_sel:WORD_1 src1_sel:DWORD
	v_add_f16_e32 v45, v55, v45
	v_add_f16_e32 v13, v13, v18
	;; [unrolled: 1-line block ×8, first 2 shown]
	v_mul_f16_e32 v115, 0xb93d, v95
	v_add_f16_e32 v45, v45, v49
	v_add_f16_e32 v13, v13, v40
	v_mul_f16_e32 v117, 0xbbad, v95
	v_mul_f16_e32 v95, 0xb08e, v95
	v_mul_f16_e32 v121, 0xbbad, v100
	v_add_f16_e32 v63, v82, v115
	v_sub_f16_e32 v59, v112, v73
	v_add_f16_e32 v45, v45, v50
	v_add_f16_e32 v13, v13, v41
	v_mul_f16_e32 v123, 0x36a6, v100
	v_mul_f16_e32 v100, 0x3abb, v100
	;; [unrolled: 1-line block ×3, first 2 shown]
	v_add_f16_e32 v90, v90, v95
	v_add_f16_e32 v68, v86, v117
	;; [unrolled: 1-line block ×5, first 2 shown]
	v_sub_f16_e32 v59, v118, v80
	v_add_f16_e32 v45, v45, v51
	v_add_f16_e32 v13, v13, v42
	v_mul_f16_e32 v129, 0x3abb, v103
	v_mul_f16_e32 v103, 0xbbad, v103
	;; [unrolled: 1-line block ×3, first 2 shown]
	v_add_f16_e32 v90, v90, v91
	v_add_f16_e32 v91, v99, v100
	;; [unrolled: 1-line block ×7, first 2 shown]
	v_sub_f16_e32 v59, v124, v84
	v_add_f16_e32 v45, v45, v52
	v_add_f16_e32 v13, v13, v43
	v_mul_f16_e32 v96, 0xb93d, v104
	v_mul_f16_e32 v104, 0x36a6, v104
	v_add_f16_e32 v90, v91, v90
	v_add_f16_e32 v91, v102, v103
	;; [unrolled: 1-line block ×7, first 2 shown]
	v_sub_f16_e32 v59, v130, v89
	v_add_f16_e32 v45, v45, v53
	v_add_f16_e32 v13, v13, v44
	;; [unrolled: 1-line block ×8, first 2 shown]
	v_pack_b32_f16 v13, v45, v13
	v_add_f16_e32 v90, v91, v90
	v_add_f16_e32 v67, v68, v67
	ds_write_b32 v24, v13
	v_lshl_add_u32 v13, v28, 2, v30
	v_pack_b32_f16 v18, v58, v57
	v_pack_b32_f16 v20, v56, v62
	ds_write2_b32 v13, v18, v20 offset0:5 offset1:10
	v_pack_b32_f16 v18, v61, v67
	v_pack_b32_f16 v20, v66, v90
	s_mov_b32 s6, 0x5040100
	ds_write2_b32 v13, v18, v20 offset0:15 offset1:20
	v_perm_b32 v18, v22, v19, s6
	v_perm_b32 v20, v33, v14, s6
	ds_write2_b32 v13, v18, v20 offset0:25 offset1:30
	v_perm_b32 v18, v34, v15, s6
	v_perm_b32 v20, v35, v16, s6
	;; [unrolled: 3-line block ×3, first 2 shown]
	ds_write2_b32 v13, v18, v20 offset0:45 offset1:50
.LBB0_5:
	s_or_b64 exec, exec, s[2:3]
	s_waitcnt lgkmcnt(0)
	s_barrier
	global_load_dword v13, v[11:12], off offset:220
	s_add_u32 s0, s0, 0xdc
	s_addc_u32 s1, s1, 0
	global_load_dword v18, v31, s[0:1] offset:44
	global_load_dword v20, v31, s[0:1] offset:176
	;; [unrolled: 1-line block ×4, first 2 shown]
	ds_read2_b32 v[11:12], v24 offset1:11
	ds_read_b32 v31, v24 offset:176
	s_movk_i32 s0, 0x3b9c
	s_movk_i32 s1, 0x38b4
	s_mov_b32 s2, 0xffff
	s_waitcnt lgkmcnt(1)
	v_lshrrev_b32_e32 v40, 16, v11
	v_lshrrev_b32_e32 v41, 16, v12
	s_waitcnt lgkmcnt(0)
	v_lshrrev_b32_e32 v42, 16, v31
	s_movk_i32 s3, 0x34f2
	s_waitcnt vmcnt(4)
	v_mul_f16_sdwa v43, v40, v13 dst_sel:DWORD dst_unused:UNUSED_PAD src0_sel:DWORD src1_sel:WORD_1
	v_mul_f16_sdwa v44, v11, v13 dst_sel:DWORD dst_unused:UNUSED_PAD src0_sel:DWORD src1_sel:WORD_1
	v_fma_f16 v11, v11, v13, -v43
	v_fma_f16 v13, v40, v13, v44
	v_pack_b32_f16 v11, v11, v13
	s_waitcnt vmcnt(3)
	v_mul_f16_sdwa v13, v41, v18 dst_sel:DWORD dst_unused:UNUSED_PAD src0_sel:DWORD src1_sel:WORD_1
	ds_write_b32 v24, v11
	v_mul_f16_sdwa v40, v12, v18 dst_sel:DWORD dst_unused:UNUSED_PAD src0_sel:DWORD src1_sel:WORD_1
	v_fma_f16 v13, v12, v18, -v13
	ds_read2_b32 v[11:12], v24 offset0:22 offset1:33
	s_waitcnt vmcnt(2)
	v_mul_f16_sdwa v43, v42, v20 dst_sel:DWORD dst_unused:UNUSED_PAD src0_sel:DWORD src1_sel:WORD_1
	v_mul_f16_sdwa v44, v31, v20 dst_sel:DWORD dst_unused:UNUSED_PAD src0_sel:DWORD src1_sel:WORD_1
	v_fma_f16 v18, v41, v18, v40
	v_fma_f16 v31, v31, v20, -v43
	v_fma_f16 v20, v42, v20, v44
	v_pack_b32_f16 v13, v13, v18
	v_pack_b32_f16 v18, v31, v20
	s_waitcnt lgkmcnt(0)
	v_lshrrev_b32_e32 v20, 16, v11
	s_waitcnt vmcnt(1)
	v_mul_f16_sdwa v31, v11, v21 dst_sel:DWORD dst_unused:UNUSED_PAD src0_sel:DWORD src1_sel:WORD_1
	v_lshrrev_b32_e32 v40, 16, v12
	s_waitcnt vmcnt(0)
	v_mul_f16_sdwa v41, v12, v39 dst_sel:DWORD dst_unused:UNUSED_PAD src0_sel:DWORD src1_sel:WORD_1
	v_mul_f16_sdwa v42, v20, v21 dst_sel:DWORD dst_unused:UNUSED_PAD src0_sel:DWORD src1_sel:WORD_1
	v_fma_f16 v20, v20, v21, v31
	v_mul_f16_sdwa v31, v40, v39 dst_sel:DWORD dst_unused:UNUSED_PAD src0_sel:DWORD src1_sel:WORD_1
	v_fma_f16 v40, v40, v39, v41
	v_fma_f16 v11, v11, v21, -v42
	v_fma_f16 v12, v12, v39, -v31
	v_pack_b32_f16 v11, v11, v20
	v_pack_b32_f16 v12, v12, v40
	ds_write2_b32 v24, v13, v11 offset0:11 offset1:22
	ds_write2_b32 v24, v12, v18 offset0:33 offset1:44
	s_waitcnt lgkmcnt(0)
	s_barrier
	ds_read2_b32 v[11:12], v24 offset1:11
	ds_read_b32 v13, v24 offset:176
	ds_read2_b32 v[20:21], v24 offset0:22 offset1:33
	s_waitcnt lgkmcnt(0)
	s_barrier
	v_pk_add_f16 v42, v11, v12
	v_pk_add_f16 v18, v12, v13 neg_lo:[0,1] neg_hi:[0,1]
	v_pk_add_f16 v39, v12, v13
	v_pk_add_f16 v43, v20, v21
	v_pk_add_f16 v31, v20, v21 neg_lo:[0,1] neg_hi:[0,1]
	v_pk_add_f16 v40, v20, v12 neg_lo:[0,1] neg_hi:[0,1]
	v_pk_add_f16 v41, v21, v13 neg_lo:[0,1] neg_hi:[0,1]
	v_pk_add_f16 v12, v12, v20 neg_lo:[0,1] neg_hi:[0,1]
	v_pk_add_f16 v44, v13, v21 neg_lo:[0,1] neg_hi:[0,1]
	v_pk_fma_f16 v39, v39, 0.5, v11 op_sel_hi:[1,0,1] neg_lo:[1,0,0] neg_hi:[1,0,0]
	v_pk_mul_f16 v46, v18, s1 op_sel_hi:[1,0]
	v_pk_add_f16 v20, v42, v20
	v_pk_fma_f16 v11, v43, 0.5, v11 op_sel_hi:[1,0,1] neg_lo:[1,0,0] neg_hi:[1,0,0]
	v_pk_mul_f16 v18, v18, s0 op_sel_hi:[1,0]
	v_pk_mul_f16 v45, v31, s0 op_sel_hi:[1,0]
	v_pk_add_f16 v40, v40, v41
	v_pk_mul_f16 v31, v31, s1 op_sel_hi:[1,0]
	v_pk_add_f16 v41, v12, v44
	v_pk_add_f16 v12, v20, v21
	v_pk_add_f16 v20, v11, v18 op_sel:[0,1] op_sel_hi:[1,0] neg_lo:[0,1] neg_hi:[0,1]
	v_pk_add_f16 v18, v11, v18 op_sel:[0,1] op_sel_hi:[1,0]
	v_pk_add_f16 v21, v45, v39 op_sel:[1,0] op_sel_hi:[0,1]
	v_pk_add_f16 v39, v39, v45 op_sel:[0,1] op_sel_hi:[1,0] neg_lo:[0,1] neg_hi:[0,1]
	v_pk_add_f16 v11, v12, v13
	v_pk_add_f16 v12, v20, v31 op_sel:[0,1] op_sel_hi:[1,0] neg_lo:[0,1] neg_hi:[0,1]
	v_pk_add_f16 v13, v18, v31 op_sel:[0,1] op_sel_hi:[1,0]
	v_pk_add_f16 v18, v21, v46 op_sel:[0,1] op_sel_hi:[1,0] neg_lo:[0,1] neg_hi:[0,1]
	v_pk_add_f16 v21, v46, v39 op_sel:[1,0] op_sel_hi:[0,1]
	v_bfi_b32 v31, s2, v12, v13
	v_bfi_b32 v13, s2, v13, v12
	v_pk_fma_f16 v20, v40, s3, v18 op_sel_hi:[1,0,1]
	v_pk_fma_f16 v21, v40, s3, v21 op_sel_hi:[1,0,1]
	;; [unrolled: 1-line block ×4, first 2 shown]
	v_lshrrev_b32_e32 v31, 16, v21
	v_lshrrev_b32_e32 v13, 16, v18
	v_bfi_b32 v39, s2, v21, v20
	v_bfi_b32 v40, s2, v20, v21
	ds_write2_b32 v32, v11, v12 offset1:1
	ds_write2_b32 v32, v40, v39 offset0:2 offset1:3
	ds_write_b32 v32, v18 offset:16
	s_waitcnt lgkmcnt(0)
	s_barrier
	s_and_saveexec_b64 s[0:1], vcc
	s_cbranch_execz .LBB0_7
; %bb.6:
	ds_read2_b32 v[20:21], v24 offset0:10 offset1:15
	ds_read2_b32 v[18:19], v24 offset0:20 offset1:25
	ds_read2_b32 v[11:12], v24 offset1:5
	ds_read2_b32 v[14:15], v24 offset0:30 offset1:35
	ds_read2_b32 v[16:17], v24 offset0:40 offset1:45
	ds_read_b32 v37, v24 offset:200
	s_waitcnt lgkmcnt(5)
	v_lshrrev_b32_e32 v31, 16, v20
	s_waitcnt lgkmcnt(4)
	v_lshrrev_b32_e32 v13, 16, v18
	v_lshrrev_b32_e32 v22, 16, v19
	s_waitcnt lgkmcnt(2)
	v_lshrrev_b32_e32 v33, 16, v14
	;; [unrolled: 3-line block ×4, first 2 shown]
	v_bfi_b32 v20, s2, v20, v21
.LBB0_7:
	s_or_b64 exec, exec, s[0:1]
	s_and_saveexec_b64 s[0:1], vcc
	s_cbranch_execz .LBB0_9
; %bb.8:
	v_lshrrev_b32_e32 v39, 16, v12
	v_mul_f16_sdwa v40, v0, v12 dst_sel:DWORD dst_unused:UNUSED_PAD src0_sel:WORD_1 src1_sel:DWORD
	v_fma_f16 v40, v0, v39, -v40
	v_mul_f16_sdwa v39, v0, v39 dst_sel:DWORD dst_unused:UNUSED_PAD src0_sel:WORD_1 src1_sel:DWORD
	v_mul_f16_sdwa v32, v10, v37 dst_sel:DWORD dst_unused:UNUSED_PAD src0_sel:WORD_1 src1_sel:DWORD
	v_fma_f16 v0, v0, v12, v39
	v_mul_f16_sdwa v39, v1, v20 dst_sel:DWORD dst_unused:UNUSED_PAD src0_sel:WORD_1 src1_sel:DWORD
	v_fma_f16 v32, v10, v38, -v32
	v_mul_f16_sdwa v12, v10, v38 dst_sel:DWORD dst_unused:UNUSED_PAD src0_sel:WORD_1 src1_sel:DWORD
	v_mul_f16_sdwa v38, v9, v17 dst_sel:DWORD dst_unused:UNUSED_PAD src0_sel:WORD_1 src1_sel:DWORD
	v_fma_f16 v39, v1, v31, -v39
	v_mul_f16_sdwa v31, v1, v31 dst_sel:DWORD dst_unused:UNUSED_PAD src0_sel:WORD_1 src1_sel:DWORD
	v_add_f16_e32 v41, v32, v40
	v_fma_f16 v10, v10, v37, v12
	v_fma_f16 v38, v9, v36, -v38
	v_fma_f16 v1, v1, v20, v31
	v_mul_f16_sdwa v31, v9, v36 dst_sel:DWORD dst_unused:UNUSED_PAD src0_sel:WORD_1 src1_sel:DWORD
	v_mul_f16_e32 v42, 0xbbad, v41
	v_sub_f16_e32 v12, v0, v10
	s_movk_i32 s12, 0x3482
	v_add_f16_e32 v43, v38, v39
	v_fma_f16 v9, v9, v17, v31
	v_fma_f16 v37, v12, s12, v42
	v_mul_f16_e32 v44, 0x3abb, v43
	v_sub_f16_e32 v17, v1, v9
	s_mov_b32 s7, 0xb853
	v_add_f16_sdwa v37, v11, v37 dst_sel:DWORD dst_unused:UNUSED_PAD src0_sel:WORD_1 src1_sel:DWORD
	v_fma_f16 v31, v17, s7, v44
	v_add_f16_e32 v31, v31, v37
	v_lshrrev_b32_e32 v20, 16, v20
	v_mul_f16_sdwa v37, v2, v21 dst_sel:DWORD dst_unused:UNUSED_PAD src0_sel:WORD_1 src1_sel:DWORD
	v_mul_f16_sdwa v36, v7, v16 dst_sel:DWORD dst_unused:UNUSED_PAD src0_sel:WORD_1 src1_sel:DWORD
	v_fma_f16 v37, v2, v20, -v37
	v_mul_f16_sdwa v20, v2, v20 dst_sel:DWORD dst_unused:UNUSED_PAD src0_sel:WORD_1 src1_sel:DWORD
	v_fma_f16 v36, v7, v35, -v36
	v_fma_f16 v2, v2, v21, v20
	v_mul_f16_sdwa v20, v7, v35 dst_sel:DWORD dst_unused:UNUSED_PAD src0_sel:WORD_1 src1_sel:DWORD
	v_add_f16_e32 v45, v36, v37
	v_fma_f16 v7, v7, v16, v20
	v_mul_f16_e32 v46, 0xb93d, v45
	v_sub_f16_e32 v16, v2, v7
	s_movk_i32 s21, 0x3a0c
	v_fma_f16 v20, v16, s21, v46
	v_add_f16_e32 v20, v20, v31
	v_mul_f16_sdwa v31, v3, v18 dst_sel:DWORD dst_unused:UNUSED_PAD src0_sel:WORD_1 src1_sel:DWORD
	v_mul_f16_sdwa v21, v6, v15 dst_sel:DWORD dst_unused:UNUSED_PAD src0_sel:WORD_1 src1_sel:DWORD
	v_fma_f16 v31, v3, v13, -v31
	v_mul_f16_sdwa v13, v3, v13 dst_sel:DWORD dst_unused:UNUSED_PAD src0_sel:WORD_1 src1_sel:DWORD
	v_fma_f16 v21, v6, v34, -v21
	v_fma_f16 v3, v3, v18, v13
	v_mul_f16_sdwa v13, v6, v34 dst_sel:DWORD dst_unused:UNUSED_PAD src0_sel:WORD_1 src1_sel:DWORD
	v_add_f16_e32 v35, v21, v31
	v_fma_f16 v6, v6, v15, v13
	v_mul_f16_e32 v47, 0x36a6, v35
	v_sub_f16_e32 v13, v3, v6
	s_mov_b32 s15, 0xbb47
	v_fma_f16 v15, v13, s15, v47
	v_add_f16_e32 v15, v15, v20
	v_mul_f16_sdwa v20, v4, v19 dst_sel:DWORD dst_unused:UNUSED_PAD src0_sel:WORD_1 src1_sel:DWORD
	v_mul_f16_sdwa v18, v5, v14 dst_sel:DWORD dst_unused:UNUSED_PAD src0_sel:WORD_1 src1_sel:DWORD
	v_fma_f16 v20, v4, v22, -v20
	v_mul_f16_sdwa v22, v4, v22 dst_sel:DWORD dst_unused:UNUSED_PAD src0_sel:WORD_1 src1_sel:DWORD
	v_fma_f16 v18, v5, v33, -v18
	v_fma_f16 v4, v4, v19, v22
	v_mul_f16_sdwa v19, v5, v33 dst_sel:DWORD dst_unused:UNUSED_PAD src0_sel:WORD_1 src1_sel:DWORD
	v_add_f16_e32 v34, v18, v20
	v_fma_f16 v5, v5, v14, v19
	v_mul_f16_e32 v48, 0xb08e, v34
	v_sub_f16_e32 v14, v4, v5
	s_movk_i32 s18, 0x3beb
	v_fma_f16 v19, v14, s18, v48
	v_sub_f16_e32 v22, v40, v32
	s_mov_b32 s2, 0xbbad
	v_add_f16_e32 v15, v19, v15
	v_add_f16_e32 v19, v10, v0
	v_mul_f16_e32 v33, 0xb482, v22
	v_sub_f16_e32 v51, v39, v38
	s_movk_i32 s3, 0x3abb
	v_fma_f16 v49, v19, s2, v33
	v_add_f16_e32 v50, v9, v1
	v_mul_f16_e32 v52, 0x3853, v51
	v_add_f16_e32 v49, v11, v49
	v_fma_f16 v53, v50, s3, v52
	v_sub_f16_e32 v54, v37, v36
	s_mov_b32 s6, 0xb93d
	v_add_f16_e32 v49, v53, v49
	v_add_f16_e32 v53, v7, v2
	v_mul_f16_e32 v55, 0xba0c, v54
	v_fma_f16 v56, v53, s6, v55
	v_sub_f16_e32 v57, v31, v21
	s_movk_i32 s13, 0x36a6
	v_add_f16_e32 v49, v56, v49
	v_add_f16_e32 v56, v6, v3
	v_mul_f16_e32 v58, 0x3b47, v57
	v_fma_f16 v59, v56, s13, v58
	v_sub_f16_e32 v60, v20, v18
	s_mov_b32 s14, 0xb08e
	v_add_f16_e32 v49, v59, v49
	v_add_f16_e32 v59, v5, v4
	v_mul_f16_e32 v61, 0xbbeb, v60
	v_fma_f16 v62, v59, s14, v61
	v_add_f16_e32 v49, v62, v49
	v_mul_f16_e32 v62, 0xb93d, v41
	s_mov_b32 s20, 0xbbeb
	v_fma_f16 v63, v12, s21, v62
	v_mul_f16_e32 v64, 0xb08e, v43
	v_add_f16_sdwa v63, v11, v63 dst_sel:DWORD dst_unused:UNUSED_PAD src0_sel:WORD_1 src1_sel:DWORD
	v_fma_f16 v65, v17, s20, v64
	s_movk_i32 s19, 0x3853
	v_add_f16_e32 v63, v65, v63
	v_mul_f16_e32 v65, 0x3abb, v45
	v_fma_f16 v66, v16, s19, v65
	v_add_f16_e32 v63, v66, v63
	v_mul_f16_e32 v66, 0xbbad, v35
	v_fma_f16 v67, v13, s12, v66
	v_add_f16_e32 v63, v67, v63
	v_mul_f16_e32 v67, 0x36a6, v34
	v_fma_f16 v68, v14, s15, v67
	v_add_f16_e32 v63, v68, v63
	v_mul_f16_e32 v68, 0xba0c, v22
	v_fma_f16 v69, v19, s6, v68
	v_mul_f16_e32 v70, 0x3beb, v51
	v_add_f16_e32 v69, v11, v69
	v_fma_f16 v71, v50, s14, v70
	v_add_f16_e32 v69, v71, v69
	v_mul_f16_e32 v71, 0xb853, v54
	v_fma_f16 v72, v53, s3, v71
	v_add_f16_e32 v69, v72, v69
	v_mul_f16_e32 v72, 0xb482, v57
	;; [unrolled: 3-line block ×4, first 2 shown]
	s_mov_b32 s16, 0xb482
	v_fma_f16 v75, v12, s18, v74
	v_mul_f16_e32 v76, 0xbbad, v43
	v_add_f16_sdwa v75, v11, v75 dst_sel:DWORD dst_unused:UNUSED_PAD src0_sel:WORD_1 src1_sel:DWORD
	v_fma_f16 v77, v17, s16, v76
	v_add_f16_e32 v75, v77, v75
	v_mul_f16_e32 v77, 0x36a6, v45
	v_fma_f16 v78, v16, s15, v77
	v_add_f16_e32 v75, v78, v75
	v_mul_f16_e32 v78, 0x3abb, v35
	v_add_f16_e32 v0, v11, v0
	v_fma_f16 v79, v13, s19, v78
	v_add_f16_e32 v0, v1, v0
	v_add_f16_e32 v75, v79, v75
	v_mul_f16_e32 v79, 0xb93d, v34
	v_add_f16_e32 v0, v2, v0
	v_fma_f16 v2, v12, s16, v42
	s_mov_b32 s17, 0xba0c
	v_fma_f16 v80, v14, s21, v79
	v_add_f16_e32 v0, v3, v0
	v_add_f16_sdwa v2, v11, v2 dst_sel:DWORD dst_unused:UNUSED_PAD src0_sel:WORD_1 src1_sel:DWORD
	v_fma_f16 v3, v17, s19, v44
	s_movk_i32 s22, 0x3b47
	v_add_f16_e32 v75, v80, v75
	v_mul_f16_e32 v80, 0xbbeb, v22
	v_add_f16_e32 v2, v3, v2
	v_fma_f16 v3, v16, s17, v46
	v_fma_f16 v81, v19, s14, v80
	v_mul_f16_e32 v82, 0x3482, v51
	v_add_f16_e32 v2, v3, v2
	v_fma_f16 v3, v13, s22, v47
	v_add_f16_e32 v81, v11, v81
	v_fma_f16 v83, v50, s2, v82
	;; [unrolled: 2-line block ×3, first 2 shown]
	v_add_f16_e32 v81, v83, v81
	v_mul_f16_e32 v83, 0x3b47, v54
	v_add_f16_e32 v2, v3, v2
	v_fma_f16 v3, v19, s2, -v33
	v_fma_f16 v84, v53, s13, v83
	v_add_f16_e32 v0, v4, v0
	v_add_f16_e32 v3, v11, v3
	v_fma_f16 v4, v50, s3, -v52
	v_add_f16_e32 v81, v84, v81
	v_mul_f16_e32 v84, 0xb853, v57
	v_add_f16_e32 v3, v4, v3
	v_fma_f16 v4, v53, s6, -v55
	v_fma_f16 v85, v56, s3, v84
	v_add_f16_e32 v3, v4, v3
	v_fma_f16 v4, v56, s13, -v58
	v_add_f16_e32 v81, v85, v81
	v_mul_f16_e32 v85, 0xba0c, v60
	v_add_f16_e32 v3, v4, v3
	v_fma_f16 v4, v59, s14, -v61
	v_fma_f16 v86, v59, s6, v85
	v_add_f16_e32 v3, v4, v3
	v_fma_f16 v4, v12, s17, v62
	v_add_f16_e32 v81, v86, v81
	v_mul_f16_e32 v86, 0x36a6, v41
	v_add_f16_e32 v0, v5, v0
	v_add_f16_sdwa v4, v11, v4 dst_sel:DWORD dst_unused:UNUSED_PAD src0_sel:WORD_1 src1_sel:DWORD
	v_fma_f16 v5, v17, s18, v64
	v_fma_f16 v87, v12, s22, v86
	v_mul_f16_e32 v88, 0xb93d, v43
	v_add_f16_e32 v4, v5, v4
	v_fma_f16 v5, v16, s7, v65
	v_add_f16_sdwa v87, v11, v87 dst_sel:DWORD dst_unused:UNUSED_PAD src0_sel:WORD_1 src1_sel:DWORD
	v_fma_f16 v89, v17, s21, v88
	v_add_f16_e32 v4, v5, v4
	v_fma_f16 v5, v13, s16, v66
	v_add_f16_e32 v87, v89, v87
	v_mul_f16_e32 v89, 0xbbad, v45
	v_add_f16_e32 v4, v5, v4
	v_fma_f16 v5, v14, s22, v67
	v_fma_f16 v90, v16, s16, v89
	v_add_f16_e32 v4, v5, v4
	v_fma_f16 v5, v19, s6, -v68
	v_add_f16_e32 v87, v90, v87
	v_mul_f16_e32 v90, 0xb08e, v35
	v_add_f16_e32 v0, v6, v0
	v_add_f16_e32 v5, v11, v5
	v_fma_f16 v6, v50, s14, -v70
	v_fma_f16 v91, v13, s20, v90
	v_add_f16_e32 v5, v6, v5
	v_fma_f16 v6, v53, s3, -v71
	v_add_f16_e32 v87, v91, v87
	v_mul_f16_e32 v91, 0x3abb, v34
	v_add_f16_e32 v5, v6, v5
	v_fma_f16 v6, v56, s2, -v72
	v_fma_f16 v92, v14, s7, v91
	v_add_f16_e32 v5, v6, v5
	v_fma_f16 v6, v59, s13, -v73
	v_add_f16_e32 v87, v92, v87
	v_mul_f16_e32 v92, 0xbb47, v22
	v_add_f16_e32 v5, v6, v5
	v_fma_f16 v6, v12, s20, v74
	v_fma_f16 v93, v19, s13, v92
	v_mul_f16_e32 v94, 0xba0c, v51
	v_add_f16_e32 v0, v7, v0
	v_add_f16_sdwa v6, v11, v6 dst_sel:DWORD dst_unused:UNUSED_PAD src0_sel:WORD_1 src1_sel:DWORD
	v_fma_f16 v7, v17, s12, v76
	v_add_f16_e32 v93, v11, v93
	v_fma_f16 v95, v50, s6, v94
	v_add_f16_e32 v6, v7, v6
	;; [unrolled: 2-line block ×3, first 2 shown]
	v_mul_f16_e32 v95, 0x3482, v54
	v_add_f16_e32 v6, v7, v6
	v_fma_f16 v7, v13, s7, v78
	v_fma_f16 v96, v53, s2, v95
	v_add_f16_e32 v6, v7, v6
	v_fma_f16 v7, v14, s17, v79
	v_add_f16_e32 v93, v96, v93
	v_mul_f16_e32 v96, 0x3beb, v57
	v_add_f16_e32 v6, v7, v6
	v_fma_f16 v7, v19, s14, -v80
	v_fma_f16 v97, v56, s14, v96
	v_add_f16_e32 v0, v9, v0
	v_add_f16_e32 v7, v11, v7
	v_fma_f16 v9, v50, s2, -v82
	v_add_f16_e32 v93, v97, v93
	v_mul_f16_e32 v97, 0x3853, v60
	v_add_f16_e32 v7, v9, v7
	v_fma_f16 v9, v53, s13, -v83
	v_fma_f16 v98, v59, s3, v97
	v_mul_f16_e32 v41, 0x3abb, v41
	v_add_f16_e32 v7, v9, v7
	v_fma_f16 v9, v56, s3, -v84
	v_add_f16_e32 v93, v98, v93
	v_fma_f16 v98, v12, s19, v41
	v_mul_f16_e32 v43, 0x36a6, v43
	v_add_f16_sdwa v1, v40, v11 dst_sel:DWORD dst_unused:UNUSED_PAD src0_sel:DWORD src1_sel:WORD_1
	v_add_f16_e32 v7, v9, v7
	v_fma_f16 v9, v59, s6, -v85
	v_add_f16_sdwa v98, v11, v98 dst_sel:DWORD dst_unused:UNUSED_PAD src0_sel:WORD_1 src1_sel:DWORD
	v_fma_f16 v99, v17, s22, v43
	v_mul_f16_e32 v45, 0xb08e, v45
	v_add_f16_e32 v1, v39, v1
	v_add_f16_e32 v7, v9, v7
	v_fma_f16 v9, v12, s15, v86
	v_fma_f16 v12, v12, s7, v41
	v_add_f16_e32 v98, v99, v98
	v_fma_f16 v99, v16, s18, v45
	v_mul_f16_e32 v35, 0xb93d, v35
	v_add_f16_e32 v0, v10, v0
	v_add_f16_e32 v1, v37, v1
	v_add_f16_sdwa v9, v11, v9 dst_sel:DWORD dst_unused:UNUSED_PAD src0_sel:WORD_1 src1_sel:DWORD
	v_fma_f16 v10, v17, s17, v88
	v_add_f16_sdwa v12, v11, v12 dst_sel:DWORD dst_unused:UNUSED_PAD src0_sel:WORD_1 src1_sel:DWORD
	v_fma_f16 v17, v17, s15, v43
	v_add_f16_e32 v98, v99, v98
	v_fma_f16 v99, v13, s21, v35
	v_mul_f16_e32 v34, 0xbbad, v34
	v_add_f16_e32 v1, v31, v1
	v_add_f16_e32 v9, v10, v9
	v_fma_f16 v10, v16, s12, v89
	v_add_f16_e32 v12, v17, v12
	v_fma_f16 v16, v16, s20, v45
	v_add_f16_e32 v98, v99, v98
	v_fma_f16 v99, v14, s12, v34
	v_mul_f16_e32 v22, 0xb853, v22
	v_add_f16_e32 v1, v20, v1
	v_add_f16_e32 v9, v10, v9
	v_fma_f16 v10, v13, s18, v90
	v_add_f16_e32 v12, v16, v12
	;; [unrolled: 8-line block ×3, first 2 shown]
	v_fma_f16 v13, v14, s16, v34
	v_add_f16_e32 v99, v11, v99
	v_fma_f16 v100, v50, s13, v51
	v_mul_f16_e32 v54, 0xbbeb, v54
	v_add_f16_e32 v1, v21, v1
	v_add_f16_e32 v9, v10, v9
	v_fma_f16 v10, v19, s13, -v92
	v_add_f16_e32 v12, v13, v12
	v_fma_f16 v13, v19, s3, -v22
	v_add_f16_e32 v99, v100, v99
	v_fma_f16 v100, v53, s14, v54
	v_mul_f16_e32 v57, 0xba0c, v57
	v_add_f16_e32 v1, v36, v1
	v_add_f16_e32 v10, v11, v10
	;; [unrolled: 1-line block ×3, first 2 shown]
	v_fma_f16 v13, v50, s13, -v51
	v_add_f16_e32 v99, v100, v99
	v_fma_f16 v100, v56, s6, v57
	v_mul_f16_e32 v60, 0xb482, v60
	v_add_f16_e32 v1, v38, v1
	v_add_f16_e32 v11, v13, v11
	v_fma_f16 v13, v53, s14, -v54
	v_add_f16_e32 v99, v100, v99
	v_fma_f16 v100, v59, s2, v60
	v_add_f16_e32 v1, v32, v1
	v_add_f16_e32 v11, v13, v11
	v_fma_f16 v13, v56, s6, -v57
	v_add_f16_e32 v99, v100, v99
	v_fma_f16 v18, v50, s6, -v94
	;; [unrolled: 2-line block ×3, first 2 shown]
	v_pack_b32_f16 v0, v0, v1
	v_add_f16_e32 v10, v18, v10
	v_fma_f16 v18, v53, s2, -v95
	v_add_f16_e32 v11, v13, v11
	ds_write_b32 v24, v0
	v_lshl_add_u32 v0, v28, 2, v30
	v_pack_b32_f16 v1, v99, v98
	v_pack_b32_f16 v13, v93, v87
	v_add_f16_e32 v10, v18, v10
	v_fma_f16 v18, v56, s14, -v96
	ds_write2_b32 v0, v1, v13 offset0:5 offset1:10
	v_pack_b32_f16 v1, v81, v75
	v_pack_b32_f16 v13, v69, v63
	v_add_f16_e32 v10, v18, v10
	v_fma_f16 v18, v59, s3, -v97
	ds_write2_b32 v0, v1, v13 offset0:15 offset1:20
	v_pack_b32_f16 v1, v49, v15
	v_pack_b32_f16 v2, v3, v2
	v_add_f16_e32 v10, v18, v10
	ds_write2_b32 v0, v1, v2 offset0:25 offset1:30
	v_pack_b32_f16 v1, v5, v4
	v_pack_b32_f16 v2, v7, v6
	ds_write2_b32 v0, v1, v2 offset0:35 offset1:40
	v_pack_b32_f16 v1, v10, v9
	v_pack_b32_f16 v2, v11, v12
	ds_write2_b32 v0, v1, v2 offset0:45 offset1:50
.LBB0_9:
	s_or_b64 exec, exec, s[0:1]
	s_waitcnt lgkmcnt(0)
	s_barrier
	ds_read2_b32 v[0:1], v24 offset1:11
	s_mov_b32 s2, 0x29e4129e
	s_mov_b32 s3, 0x3f929e41
	v_mad_u64_u32 v[4:5], s[0:1], s10, v8, 0
	s_waitcnt lgkmcnt(0)
	v_lshrrev_b32_e32 v7, 16, v0
	v_mul_f16_sdwa v2, v29, v7 dst_sel:DWORD dst_unused:UNUSED_PAD src0_sel:WORD_1 src1_sel:DWORD
	v_fma_f16 v2, v29, v0, v2
	v_cvt_f32_f16_e32 v2, v2
	s_movk_i32 s6, 0x1ff
	v_mad_u64_u32 v[5:6], s[0:1], s11, v8, v[5:6]
	v_cvt_f64_f32_e32 v[2:3], v2
	s_movk_i32 s7, 0xffe
	v_mul_f16_sdwa v0, v29, v0 dst_sel:DWORD dst_unused:UNUSED_PAD src0_sel:WORD_1 src1_sel:DWORD
	v_fma_f16 v0, v29, v7, -v0
	v_mul_f64 v[2:3], v[2:3], s[2:3]
	v_cvt_f32_f16_e32 v7, v0
	v_mov_b32_e32 v0, 0x7c00
	s_movk_i32 s10, 0x40f
	s_mov_b32 s11, 0x8000
	v_and_or_b32 v2, v3, s6, v2
	v_cmp_ne_u32_e32 vcc, 0, v2
	v_lshrrev_b32_e32 v6, 8, v3
	v_bfe_u32 v8, v3, 20, 11
	v_cndmask_b32_e64 v2, 0, 1, vcc
	v_sub_u32_e32 v9, 0x3f1, v8
	v_and_or_b32 v2, v6, s7, v2
	v_or_b32_e32 v6, 0x1000, v2
	v_med3_i32 v9, v9, 0, 13
	v_lshrrev_b32_e32 v10, v9, v6
	v_lshlrev_b32_e32 v9, v9, v10
	v_cmp_ne_u32_e32 vcc, v9, v6
	v_cndmask_b32_e64 v6, 0, 1, vcc
	v_add_u32_e32 v8, 0xfffffc10, v8
	v_or_b32_e32 v6, v10, v6
	v_lshl_or_b32 v9, v8, 12, v2
	v_cmp_gt_i32_e32 vcc, 1, v8
	v_cndmask_b32_e32 v6, v9, v6, vcc
	v_and_b32_e32 v9, 7, v6
	v_cmp_lt_i32_e32 vcc, 5, v9
	v_cmp_eq_u32_e64 s[0:1], 3, v9
	v_lshrrev_b32_e32 v6, 2, v6
	s_or_b64 vcc, s[0:1], vcc
	v_addc_co_u32_e32 v9, vcc, 0, v6, vcc
	v_cvt_f64_f32_e32 v[6:7], v7
	v_cmp_gt_i32_e32 vcc, 31, v8
	v_cndmask_b32_e32 v9, v0, v9, vcc
	v_cmp_ne_u32_e32 vcc, 0, v2
	v_mul_f64 v[6:7], v[6:7], s[2:3]
	v_cndmask_b32_e64 v2, 0, 1, vcc
	v_lshl_or_b32 v2, v2, 9, v0
	v_cmp_eq_u32_e32 vcc, s10, v8
	v_cndmask_b32_e32 v2, v9, v2, vcc
	v_lshrrev_b32_e32 v3, 16, v3
	v_and_or_b32 v10, v3, s11, v2
	v_and_or_b32 v2, v7, s6, v6
	v_cmp_ne_u32_e32 vcc, 0, v2
	v_cndmask_b32_e64 v2, 0, 1, vcc
	v_lshrrev_b32_e32 v3, 8, v7
	v_and_or_b32 v6, v3, s7, v2
	v_bfe_u32 v3, v7, 20, 11
	v_sub_u32_e32 v8, 0x3f1, v3
	v_or_b32_e32 v2, 0x1000, v6
	v_med3_i32 v8, v8, 0, 13
	v_lshrrev_b32_e32 v9, v8, v2
	v_lshlrev_b32_e32 v8, v8, v9
	v_cmp_ne_u32_e32 vcc, v8, v2
	v_cndmask_b32_e64 v2, 0, 1, vcc
	v_add_u32_e32 v11, 0xfffffc10, v3
	v_or_b32_e32 v2, v9, v2
	v_lshl_or_b32 v3, v11, 12, v6
	v_cmp_gt_i32_e32 vcc, 1, v11
	v_cndmask_b32_e32 v2, v3, v2, vcc
	v_and_b32_e32 v3, 7, v2
	v_cmp_lt_i32_e32 vcc, 5, v3
	v_cmp_eq_u32_e64 s[0:1], 3, v3
	v_lshrrev_b32_e32 v2, 2, v2
	s_or_b64 vcc, s[0:1], vcc
	v_addc_co_u32_e32 v2, vcc, 0, v2, vcc
	v_cmp_gt_i32_e32 vcc, 31, v11
	v_cndmask_b32_e32 v12, v0, v2, vcc
	v_mad_u64_u32 v[2:3], s[0:1], s8, v28, 0
	v_cmp_ne_u32_e32 vcc, 0, v6
	v_cndmask_b32_e64 v6, 0, 1, vcc
	v_mad_u64_u32 v[8:9], s[0:1], s9, v28, v[3:4]
	v_lshl_or_b32 v6, v6, 9, v0
	v_cmp_eq_u32_e32 vcc, s10, v11
	v_cndmask_b32_e32 v3, v12, v6, vcc
	v_lshrrev_b32_e32 v6, 16, v7
	v_and_or_b32 v6, v6, s11, v3
	v_mov_b32_e32 v3, v8
	v_lshrrev_b32_e32 v8, 16, v1
	v_mul_f16_sdwa v9, v27, v8 dst_sel:DWORD dst_unused:UNUSED_PAD src0_sel:WORD_1 src1_sel:DWORD
	v_fma_f16 v9, v27, v1, v9
	v_cvt_f32_f16_e32 v9, v9
	v_and_b32_e32 v7, 0xffff, v10
	v_lshl_or_b32 v10, v6, 16, v7
	v_lshlrev_b64 v[4:5], 2, v[4:5]
	v_cvt_f64_f32_e32 v[6:7], v9
	v_mov_b32_e32 v11, s5
	v_add_co_u32_e32 v9, vcc, s4, v4
	v_addc_co_u32_e32 v11, vcc, v11, v5, vcc
	v_mul_f64 v[4:5], v[6:7], s[2:3]
	v_lshlrev_b64 v[2:3], 2, v[2:3]
	v_mul_f16_sdwa v1, v27, v1 dst_sel:DWORD dst_unused:UNUSED_PAD src0_sel:WORD_1 src1_sel:DWORD
	v_add_co_u32_e32 v2, vcc, v9, v2
	v_addc_co_u32_e32 v3, vcc, v11, v3, vcc
	global_store_dword v[2:3], v10, off
	v_and_or_b32 v4, v5, s6, v4
	v_cmp_ne_u32_e32 vcc, 0, v4
	v_cndmask_b32_e64 v4, 0, 1, vcc
	v_lshrrev_b32_e32 v9, 8, v5
	v_bfe_u32 v10, v5, 20, 11
	v_and_or_b32 v4, v9, s7, v4
	v_sub_u32_e32 v11, 0x3f1, v10
	v_or_b32_e32 v9, 0x1000, v4
	v_med3_i32 v11, v11, 0, 13
	v_lshrrev_b32_e32 v12, v11, v9
	v_lshlrev_b32_e32 v11, v11, v12
	v_cmp_ne_u32_e32 vcc, v11, v9
	v_fma_f16 v1, v27, v8, -v1
	v_cndmask_b32_e64 v9, 0, 1, vcc
	v_add_u32_e32 v10, 0xfffffc10, v10
	v_cvt_f32_f16_e32 v1, v1
	v_or_b32_e32 v9, v12, v9
	v_lshl_or_b32 v11, v10, 12, v4
	v_cmp_gt_i32_e32 vcc, 1, v10
	v_cndmask_b32_e32 v9, v11, v9, vcc
	v_and_b32_e32 v11, 7, v9
	v_cmp_lt_i32_e32 vcc, 5, v11
	v_cmp_eq_u32_e64 s[0:1], 3, v11
	v_lshrrev_b32_e32 v11, 2, v9
	v_cvt_f64_f32_e32 v[8:9], v1
	s_or_b64 vcc, s[0:1], vcc
	v_addc_co_u32_e32 v1, vcc, 0, v11, vcc
	v_mul_f64 v[8:9], v[8:9], s[2:3]
	v_cmp_gt_i32_e32 vcc, 31, v10
	v_cndmask_b32_e32 v1, v0, v1, vcc
	v_cmp_ne_u32_e32 vcc, 0, v4
	v_cndmask_b32_e64 v4, 0, 1, vcc
	v_lshl_or_b32 v4, v4, 9, v0
	v_cmp_eq_u32_e32 vcc, s10, v10
	v_cndmask_b32_e32 v1, v1, v4, vcc
	v_lshrrev_b32_e32 v4, 16, v5
	v_and_or_b32 v1, v4, s11, v1
	v_and_or_b32 v4, v9, s6, v8
	v_cmp_ne_u32_e32 vcc, 0, v4
	v_cndmask_b32_e64 v4, 0, 1, vcc
	v_lshrrev_b32_e32 v5, 8, v9
	v_bfe_u32 v8, v9, 20, 11
	v_and_or_b32 v4, v5, s7, v4
	v_sub_u32_e32 v10, 0x3f1, v8
	v_or_b32_e32 v5, 0x1000, v4
	v_med3_i32 v10, v10, 0, 13
	v_lshrrev_b32_e32 v11, v10, v5
	v_lshlrev_b32_e32 v10, v10, v11
	v_cmp_ne_u32_e32 vcc, v10, v5
	v_cndmask_b32_e64 v5, 0, 1, vcc
	v_add_u32_e32 v8, 0xfffffc10, v8
	v_or_b32_e32 v5, v11, v5
	v_lshl_or_b32 v10, v8, 12, v4
	v_cmp_gt_i32_e32 vcc, 1, v8
	v_cndmask_b32_e32 v5, v10, v5, vcc
	v_and_b32_e32 v10, 7, v5
	v_cmp_lt_i32_e32 vcc, 5, v10
	v_cmp_eq_u32_e64 s[0:1], 3, v10
	ds_read2_b32 v[6:7], v24 offset0:22 offset1:33
	v_lshrrev_b32_e32 v5, 2, v5
	s_or_b64 vcc, s[0:1], vcc
	v_addc_co_u32_e32 v5, vcc, 0, v5, vcc
	v_cmp_gt_i32_e32 vcc, 31, v8
	v_cndmask_b32_e32 v5, v0, v5, vcc
	v_cmp_ne_u32_e32 vcc, 0, v4
	v_cndmask_b32_e64 v4, 0, 1, vcc
	v_lshl_or_b32 v4, v4, 9, v0
	v_cmp_eq_u32_e32 vcc, s10, v8
	s_waitcnt lgkmcnt(0)
	v_lshrrev_b32_e32 v8, 16, v6
	v_cndmask_b32_e32 v4, v5, v4, vcc
	v_lshrrev_b32_e32 v5, 16, v9
	v_mul_f16_sdwa v9, v26, v8 dst_sel:DWORD dst_unused:UNUSED_PAD src0_sel:WORD_1 src1_sel:DWORD
	v_fma_f16 v9, v26, v6, v9
	v_cvt_f32_f16_e32 v9, v9
	v_and_or_b32 v4, v5, s11, v4
	v_and_b32_e32 v1, 0xffff, v1
	v_lshl_or_b32 v10, v4, 16, v1
	v_cvt_f64_f32_e32 v[4:5], v9
	s_mul_i32 s0, s9, 44
	s_mul_hi_u32 s4, s8, 44
	s_add_i32 s4, s4, s0
	v_mul_f64 v[4:5], v[4:5], s[2:3]
	s_mul_i32 s5, s8, 44
	v_mov_b32_e32 v9, s4
	v_add_co_u32_e32 v1, vcc, s5, v2
	v_addc_co_u32_e32 v2, vcc, v3, v9, vcc
	global_store_dword v[1:2], v10, off
	v_and_or_b32 v3, v5, s6, v4
	v_cmp_ne_u32_e32 vcc, 0, v3
	v_cndmask_b32_e64 v3, 0, 1, vcc
	v_lshrrev_b32_e32 v4, 8, v5
	v_and_or_b32 v9, v4, s7, v3
	v_bfe_u32 v4, v5, 20, 11
	v_sub_u32_e32 v10, 0x3f1, v4
	v_or_b32_e32 v3, 0x1000, v9
	v_med3_i32 v10, v10, 0, 13
	v_lshrrev_b32_e32 v11, v10, v3
	v_lshlrev_b32_e32 v10, v10, v11
	v_mul_f16_sdwa v6, v26, v6 dst_sel:DWORD dst_unused:UNUSED_PAD src0_sel:WORD_1 src1_sel:DWORD
	v_cmp_ne_u32_e32 vcc, v10, v3
	v_fma_f16 v6, v26, v8, -v6
	v_cndmask_b32_e64 v3, 0, 1, vcc
	v_add_u32_e32 v10, 0xfffffc10, v4
	v_cvt_f32_f16_e32 v6, v6
	v_or_b32_e32 v3, v11, v3
	v_lshl_or_b32 v4, v10, 12, v9
	v_cmp_gt_i32_e32 vcc, 1, v10
	v_cndmask_b32_e32 v3, v4, v3, vcc
	v_and_b32_e32 v4, 7, v3
	v_cmp_lt_i32_e32 vcc, 5, v4
	v_cmp_eq_u32_e64 s[0:1], 3, v4
	v_lshrrev_b32_e32 v8, 2, v3
	v_cvt_f64_f32_e32 v[3:4], v6
	s_or_b64 vcc, s[0:1], vcc
	v_addc_co_u32_e32 v6, vcc, 0, v8, vcc
	v_mul_f64 v[3:4], v[3:4], s[2:3]
	v_cmp_gt_i32_e32 vcc, 31, v10
	v_cndmask_b32_e32 v6, v0, v6, vcc
	v_cmp_ne_u32_e32 vcc, 0, v9
	v_cndmask_b32_e64 v8, 0, 1, vcc
	v_lshl_or_b32 v8, v8, 9, v0
	v_cmp_eq_u32_e32 vcc, s10, v10
	v_cndmask_b32_e32 v6, v6, v8, vcc
	v_and_or_b32 v3, v4, s6, v3
	v_lshrrev_b32_e32 v5, 16, v5
	v_cmp_ne_u32_e32 vcc, 0, v3
	v_and_or_b32 v8, v5, s11, v6
	v_cndmask_b32_e64 v3, 0, 1, vcc
	v_lshrrev_b32_e32 v5, 8, v4
	v_bfe_u32 v6, v4, 20, 11
	v_and_or_b32 v3, v5, s7, v3
	v_sub_u32_e32 v9, 0x3f1, v6
	v_or_b32_e32 v5, 0x1000, v3
	v_med3_i32 v9, v9, 0, 13
	v_lshrrev_b32_e32 v10, v9, v5
	v_lshlrev_b32_e32 v9, v9, v10
	v_cmp_ne_u32_e32 vcc, v9, v5
	v_cndmask_b32_e64 v5, 0, 1, vcc
	v_add_u32_e32 v6, 0xfffffc10, v6
	v_or_b32_e32 v5, v10, v5
	v_lshl_or_b32 v9, v6, 12, v3
	v_cmp_gt_i32_e32 vcc, 1, v6
	v_cndmask_b32_e32 v5, v9, v5, vcc
	v_and_b32_e32 v9, 7, v5
	v_cmp_lt_i32_e32 vcc, 5, v9
	v_cmp_eq_u32_e64 s[0:1], 3, v9
	v_lshrrev_b32_e32 v9, 16, v7
	v_lshrrev_b32_e32 v5, 2, v5
	s_or_b64 vcc, s[0:1], vcc
	v_mul_f16_sdwa v10, v25, v9 dst_sel:DWORD dst_unused:UNUSED_PAD src0_sel:WORD_1 src1_sel:DWORD
	v_addc_co_u32_e32 v5, vcc, 0, v5, vcc
	v_fma_f16 v10, v25, v7, v10
	v_cmp_gt_i32_e32 vcc, 31, v6
	v_cvt_f32_f16_e32 v10, v10
	v_cndmask_b32_e32 v5, v0, v5, vcc
	v_cmp_ne_u32_e32 vcc, 0, v3
	v_cndmask_b32_e64 v3, 0, 1, vcc
	v_lshl_or_b32 v3, v3, 9, v0
	v_cmp_eq_u32_e32 vcc, s10, v6
	v_cndmask_b32_e32 v3, v5, v3, vcc
	v_cvt_f64_f32_e32 v[5:6], v10
	v_lshrrev_b32_e32 v4, 16, v4
	v_and_or_b32 v10, v4, s11, v3
	v_add_co_u32_e32 v1, vcc, s5, v1
	v_mul_f64 v[3:4], v[5:6], s[2:3]
	v_mov_b32_e32 v6, s4
	v_and_b32_e32 v8, 0xffff, v8
	v_addc_co_u32_e32 v2, vcc, v2, v6, vcc
	v_lshl_or_b32 v5, v10, 16, v8
	global_store_dword v[1:2], v5, off
	v_mul_f16_sdwa v7, v25, v7 dst_sel:DWORD dst_unused:UNUSED_PAD src0_sel:WORD_1 src1_sel:DWORD
	v_and_or_b32 v3, v4, s6, v3
	v_cmp_ne_u32_e32 vcc, 0, v3
	v_cndmask_b32_e64 v3, 0, 1, vcc
	v_lshrrev_b32_e32 v5, 8, v4
	v_bfe_u32 v6, v4, 20, 11
	v_and_or_b32 v3, v5, s7, v3
	v_sub_u32_e32 v8, 0x3f1, v6
	v_or_b32_e32 v5, 0x1000, v3
	v_med3_i32 v8, v8, 0, 13
	v_lshrrev_b32_e32 v10, v8, v5
	v_lshlrev_b32_e32 v8, v8, v10
	v_cmp_ne_u32_e32 vcc, v8, v5
	v_fma_f16 v7, v25, v9, -v7
	v_cndmask_b32_e64 v5, 0, 1, vcc
	v_add_u32_e32 v8, 0xfffffc10, v6
	v_cvt_f32_f16_e32 v7, v7
	v_or_b32_e32 v5, v10, v5
	v_lshl_or_b32 v6, v8, 12, v3
	v_cmp_gt_i32_e32 vcc, 1, v8
	v_cndmask_b32_e32 v5, v6, v5, vcc
	v_and_b32_e32 v6, 7, v5
	v_cmp_lt_i32_e32 vcc, 5, v6
	v_cmp_eq_u32_e64 s[0:1], 3, v6
	v_lshrrev_b32_e32 v9, 2, v5
	v_cvt_f64_f32_e32 v[5:6], v7
	s_or_b64 vcc, s[0:1], vcc
	v_addc_co_u32_e32 v7, vcc, 0, v9, vcc
	v_mul_f64 v[5:6], v[5:6], s[2:3]
	v_cmp_gt_i32_e32 vcc, 31, v8
	v_cndmask_b32_e32 v7, v0, v7, vcc
	v_cmp_ne_u32_e32 vcc, 0, v3
	v_cndmask_b32_e64 v3, 0, 1, vcc
	v_lshl_or_b32 v3, v3, 9, v0
	v_cmp_eq_u32_e32 vcc, s10, v8
	v_cndmask_b32_e32 v3, v7, v3, vcc
	v_lshrrev_b32_e32 v4, 16, v4
	v_and_or_b32 v7, v4, s11, v3
	v_and_or_b32 v3, v6, s6, v5
	v_cmp_ne_u32_e32 vcc, 0, v3
	v_cndmask_b32_e64 v3, 0, 1, vcc
	v_lshrrev_b32_e32 v4, 8, v6
	v_bfe_u32 v5, v6, 20, 11
	v_and_or_b32 v3, v4, s7, v3
	v_sub_u32_e32 v8, 0x3f1, v5
	v_or_b32_e32 v4, 0x1000, v3
	v_med3_i32 v8, v8, 0, 13
	v_lshrrev_b32_e32 v9, v8, v4
	v_lshlrev_b32_e32 v8, v8, v9
	v_cmp_ne_u32_e32 vcc, v8, v4
	v_cndmask_b32_e64 v4, 0, 1, vcc
	v_add_u32_e32 v5, 0xfffffc10, v5
	v_or_b32_e32 v4, v9, v4
	v_lshl_or_b32 v8, v5, 12, v3
	v_cmp_gt_i32_e32 vcc, 1, v5
	v_cndmask_b32_e32 v4, v8, v4, vcc
	v_and_b32_e32 v8, 7, v4
	v_cmp_lt_i32_e32 vcc, 5, v8
	v_cmp_eq_u32_e64 s[0:1], 3, v8
	ds_read_b32 v8, v24 offset:176
	v_lshrrev_b32_e32 v4, 2, v4
	s_or_b64 vcc, s[0:1], vcc
	v_addc_co_u32_e32 v4, vcc, 0, v4, vcc
	s_waitcnt lgkmcnt(0)
	v_lshrrev_b32_e32 v9, 16, v8
	v_mul_f16_sdwa v10, v23, v9 dst_sel:DWORD dst_unused:UNUSED_PAD src0_sel:WORD_1 src1_sel:DWORD
	v_fma_f16 v10, v23, v8, v10
	v_cmp_gt_i32_e32 vcc, 31, v5
	v_cvt_f32_f16_e32 v10, v10
	v_cndmask_b32_e32 v4, v0, v4, vcc
	v_cmp_ne_u32_e32 vcc, 0, v3
	v_cndmask_b32_e64 v3, 0, 1, vcc
	v_lshl_or_b32 v3, v3, 9, v0
	v_cmp_eq_u32_e32 vcc, s10, v5
	v_cndmask_b32_e32 v5, v4, v3, vcc
	v_cvt_f64_f32_e32 v[3:4], v10
	v_lshrrev_b32_e32 v6, 16, v6
	v_and_or_b32 v5, v6, s11, v5
	v_and_b32_e32 v6, 0xffff, v7
	v_mul_f64 v[3:4], v[3:4], s[2:3]
	v_lshl_or_b32 v5, v5, 16, v6
	v_mov_b32_e32 v6, s4
	v_add_co_u32_e32 v1, vcc, s5, v1
	v_addc_co_u32_e32 v2, vcc, v2, v6, vcc
	global_store_dword v[1:2], v5, off
	v_and_or_b32 v3, v4, s6, v3
	v_cmp_ne_u32_e32 vcc, 0, v3
	v_cndmask_b32_e64 v3, 0, 1, vcc
	v_lshrrev_b32_e32 v5, 8, v4
	v_bfe_u32 v6, v4, 20, 11
	v_and_or_b32 v3, v5, s7, v3
	v_sub_u32_e32 v7, 0x3f1, v6
	v_or_b32_e32 v5, 0x1000, v3
	v_med3_i32 v7, v7, 0, 13
	v_lshrrev_b32_e32 v10, v7, v5
	v_lshlrev_b32_e32 v7, v7, v10
	v_mul_f16_sdwa v8, v23, v8 dst_sel:DWORD dst_unused:UNUSED_PAD src0_sel:WORD_1 src1_sel:DWORD
	v_cmp_ne_u32_e32 vcc, v7, v5
	v_fma_f16 v8, v23, v9, -v8
	v_cndmask_b32_e64 v5, 0, 1, vcc
	v_add_u32_e32 v7, 0xfffffc10, v6
	v_cvt_f32_f16_e32 v8, v8
	v_or_b32_e32 v5, v10, v5
	v_lshl_or_b32 v6, v7, 12, v3
	v_cmp_gt_i32_e32 vcc, 1, v7
	v_cndmask_b32_e32 v5, v6, v5, vcc
	v_and_b32_e32 v6, 7, v5
	v_cmp_lt_i32_e32 vcc, 5, v6
	v_cmp_eq_u32_e64 s[0:1], 3, v6
	v_lshrrev_b32_e32 v9, 2, v5
	v_cvt_f64_f32_e32 v[5:6], v8
	s_or_b64 vcc, s[0:1], vcc
	v_addc_co_u32_e32 v8, vcc, 0, v9, vcc
	v_mul_f64 v[5:6], v[5:6], s[2:3]
	v_cmp_gt_i32_e32 vcc, 31, v7
	v_cndmask_b32_e32 v8, v0, v8, vcc
	v_cmp_ne_u32_e32 vcc, 0, v3
	v_cndmask_b32_e64 v3, 0, 1, vcc
	v_lshl_or_b32 v3, v3, 9, v0
	v_cmp_eq_u32_e32 vcc, s10, v7
	v_cndmask_b32_e32 v3, v8, v3, vcc
	v_lshrrev_b32_e32 v4, 16, v4
	v_and_or_b32 v3, v4, s11, v3
	v_and_or_b32 v4, v6, s6, v5
	v_cmp_ne_u32_e32 vcc, 0, v4
	v_cndmask_b32_e64 v4, 0, 1, vcc
	v_lshrrev_b32_e32 v5, 8, v6
	v_bfe_u32 v7, v6, 20, 11
	v_and_or_b32 v4, v5, s7, v4
	v_sub_u32_e32 v8, 0x3f1, v7
	v_or_b32_e32 v5, 0x1000, v4
	v_med3_i32 v8, v8, 0, 13
	v_lshrrev_b32_e32 v9, v8, v5
	v_lshlrev_b32_e32 v8, v8, v9
	v_cmp_ne_u32_e32 vcc, v8, v5
	v_cndmask_b32_e64 v5, 0, 1, vcc
	v_add_u32_e32 v7, 0xfffffc10, v7
	v_or_b32_e32 v5, v9, v5
	v_lshl_or_b32 v8, v7, 12, v4
	v_cmp_gt_i32_e32 vcc, 1, v7
	v_cndmask_b32_e32 v5, v8, v5, vcc
	v_and_b32_e32 v8, 7, v5
	v_cmp_lt_i32_e32 vcc, 5, v8
	v_cmp_eq_u32_e64 s[0:1], 3, v8
	v_lshrrev_b32_e32 v5, 2, v5
	s_or_b64 vcc, s[0:1], vcc
	v_addc_co_u32_e32 v5, vcc, 0, v5, vcc
	v_cmp_gt_i32_e32 vcc, 31, v7
	v_cndmask_b32_e32 v5, v0, v5, vcc
	v_cmp_ne_u32_e32 vcc, 0, v4
	v_cndmask_b32_e64 v4, 0, 1, vcc
	v_lshl_or_b32 v0, v4, 9, v0
	v_cmp_eq_u32_e32 vcc, s10, v7
	v_cndmask_b32_e32 v0, v5, v0, vcc
	v_lshrrev_b32_e32 v4, 16, v6
	v_and_or_b32 v0, v4, s11, v0
	v_and_b32_e32 v3, 0xffff, v3
	v_lshl_or_b32 v3, v0, 16, v3
	v_mov_b32_e32 v4, s4
	v_add_co_u32_e32 v0, vcc, s5, v1
	v_addc_co_u32_e32 v1, vcc, v2, v4, vcc
	global_store_dword v[0:1], v3, off
.LBB0_10:
	s_endpgm
	.section	.rodata,"a",@progbits
	.p2align	6, 0x0
	.amdhsa_kernel bluestein_single_fwd_len55_dim1_half_op_CI_CI
		.amdhsa_group_segment_fixed_size 5060
		.amdhsa_private_segment_fixed_size 0
		.amdhsa_kernarg_size 104
		.amdhsa_user_sgpr_count 6
		.amdhsa_user_sgpr_private_segment_buffer 1
		.amdhsa_user_sgpr_dispatch_ptr 0
		.amdhsa_user_sgpr_queue_ptr 0
		.amdhsa_user_sgpr_kernarg_segment_ptr 1
		.amdhsa_user_sgpr_dispatch_id 0
		.amdhsa_user_sgpr_flat_scratch_init 0
		.amdhsa_user_sgpr_private_segment_size 0
		.amdhsa_uses_dynamic_stack 0
		.amdhsa_system_sgpr_private_segment_wavefront_offset 0
		.amdhsa_system_sgpr_workgroup_id_x 1
		.amdhsa_system_sgpr_workgroup_id_y 0
		.amdhsa_system_sgpr_workgroup_id_z 0
		.amdhsa_system_sgpr_workgroup_info 0
		.amdhsa_system_vgpr_workitem_id 0
		.amdhsa_next_free_vgpr 135
		.amdhsa_next_free_sgpr 23
		.amdhsa_reserve_vcc 1
		.amdhsa_reserve_flat_scratch 0
		.amdhsa_float_round_mode_32 0
		.amdhsa_float_round_mode_16_64 0
		.amdhsa_float_denorm_mode_32 3
		.amdhsa_float_denorm_mode_16_64 3
		.amdhsa_dx10_clamp 1
		.amdhsa_ieee_mode 1
		.amdhsa_fp16_overflow 0
		.amdhsa_exception_fp_ieee_invalid_op 0
		.amdhsa_exception_fp_denorm_src 0
		.amdhsa_exception_fp_ieee_div_zero 0
		.amdhsa_exception_fp_ieee_overflow 0
		.amdhsa_exception_fp_ieee_underflow 0
		.amdhsa_exception_fp_ieee_inexact 0
		.amdhsa_exception_int_div_zero 0
	.end_amdhsa_kernel
	.text
.Lfunc_end0:
	.size	bluestein_single_fwd_len55_dim1_half_op_CI_CI, .Lfunc_end0-bluestein_single_fwd_len55_dim1_half_op_CI_CI
                                        ; -- End function
	.section	.AMDGPU.csdata,"",@progbits
; Kernel info:
; codeLenInByte = 9560
; NumSgprs: 27
; NumVgprs: 135
; ScratchSize: 0
; MemoryBound: 0
; FloatMode: 240
; IeeeMode: 1
; LDSByteSize: 5060 bytes/workgroup (compile time only)
; SGPRBlocks: 3
; VGPRBlocks: 33
; NumSGPRsForWavesPerEU: 27
; NumVGPRsForWavesPerEU: 135
; Occupancy: 1
; WaveLimiterHint : 1
; COMPUTE_PGM_RSRC2:SCRATCH_EN: 0
; COMPUTE_PGM_RSRC2:USER_SGPR: 6
; COMPUTE_PGM_RSRC2:TRAP_HANDLER: 0
; COMPUTE_PGM_RSRC2:TGID_X_EN: 1
; COMPUTE_PGM_RSRC2:TGID_Y_EN: 0
; COMPUTE_PGM_RSRC2:TGID_Z_EN: 0
; COMPUTE_PGM_RSRC2:TIDIG_COMP_CNT: 0
	.type	__hip_cuid_544b78fdec720f26,@object ; @__hip_cuid_544b78fdec720f26
	.section	.bss,"aw",@nobits
	.globl	__hip_cuid_544b78fdec720f26
__hip_cuid_544b78fdec720f26:
	.byte	0                               ; 0x0
	.size	__hip_cuid_544b78fdec720f26, 1

	.ident	"AMD clang version 19.0.0git (https://github.com/RadeonOpenCompute/llvm-project roc-6.4.0 25133 c7fe45cf4b819c5991fe208aaa96edf142730f1d)"
	.section	".note.GNU-stack","",@progbits
	.addrsig
	.addrsig_sym __hip_cuid_544b78fdec720f26
	.amdgpu_metadata
---
amdhsa.kernels:
  - .args:
      - .actual_access:  read_only
        .address_space:  global
        .offset:         0
        .size:           8
        .value_kind:     global_buffer
      - .actual_access:  read_only
        .address_space:  global
        .offset:         8
        .size:           8
        .value_kind:     global_buffer
      - .actual_access:  read_only
        .address_space:  global
        .offset:         16
        .size:           8
        .value_kind:     global_buffer
      - .actual_access:  read_only
        .address_space:  global
        .offset:         24
        .size:           8
        .value_kind:     global_buffer
      - .actual_access:  read_only
        .address_space:  global
        .offset:         32
        .size:           8
        .value_kind:     global_buffer
      - .offset:         40
        .size:           8
        .value_kind:     by_value
      - .address_space:  global
        .offset:         48
        .size:           8
        .value_kind:     global_buffer
      - .address_space:  global
        .offset:         56
        .size:           8
        .value_kind:     global_buffer
      - .address_space:  global
        .offset:         64
        .size:           8
        .value_kind:     global_buffer
      - .address_space:  global
        .offset:         72
        .size:           8
        .value_kind:     global_buffer
      - .offset:         80
        .size:           4
        .value_kind:     by_value
      - .address_space:  global
        .offset:         88
        .size:           8
        .value_kind:     global_buffer
      - .address_space:  global
        .offset:         96
        .size:           8
        .value_kind:     global_buffer
    .group_segment_fixed_size: 5060
    .kernarg_segment_align: 8
    .kernarg_segment_size: 104
    .language:       OpenCL C
    .language_version:
      - 2
      - 0
    .max_flat_workgroup_size: 253
    .name:           bluestein_single_fwd_len55_dim1_half_op_CI_CI
    .private_segment_fixed_size: 0
    .sgpr_count:     27
    .sgpr_spill_count: 0
    .symbol:         bluestein_single_fwd_len55_dim1_half_op_CI_CI.kd
    .uniform_work_group_size: 1
    .uses_dynamic_stack: false
    .vgpr_count:     135
    .vgpr_spill_count: 0
    .wavefront_size: 64
amdhsa.target:   amdgcn-amd-amdhsa--gfx906
amdhsa.version:
  - 1
  - 2
...

	.end_amdgpu_metadata
